;; amdgpu-corpus repo=ROCm/rocFFT kind=compiled arch=gfx906 opt=O3
	.text
	.amdgcn_target "amdgcn-amd-amdhsa--gfx906"
	.amdhsa_code_object_version 6
	.protected	fft_rtc_fwd_len363_factors_11_3_11_wgs_99_tpt_33_halfLds_dp_op_CI_CI_sbrr_dirReg ; -- Begin function fft_rtc_fwd_len363_factors_11_3_11_wgs_99_tpt_33_halfLds_dp_op_CI_CI_sbrr_dirReg
	.globl	fft_rtc_fwd_len363_factors_11_3_11_wgs_99_tpt_33_halfLds_dp_op_CI_CI_sbrr_dirReg
	.p2align	8
	.type	fft_rtc_fwd_len363_factors_11_3_11_wgs_99_tpt_33_halfLds_dp_op_CI_CI_sbrr_dirReg,@function
fft_rtc_fwd_len363_factors_11_3_11_wgs_99_tpt_33_halfLds_dp_op_CI_CI_sbrr_dirReg: ; @fft_rtc_fwd_len363_factors_11_3_11_wgs_99_tpt_33_halfLds_dp_op_CI_CI_sbrr_dirReg
; %bb.0:
	s_load_dwordx4 s[16:19], s[4:5], 0x18
	s_load_dwordx4 s[12:15], s[4:5], 0x0
	;; [unrolled: 1-line block ×3, first 2 shown]
	v_mul_u32_u24_e32 v1, 0x7c2, v0
	v_lshrrev_b32_e32 v1, 16, v1
	s_waitcnt lgkmcnt(0)
	s_load_dwordx2 s[20:21], s[16:17], 0x0
	s_load_dwordx2 s[2:3], s[18:19], 0x0
	v_mad_u64_u32 v[32:33], s[0:1], s6, 3, v[1:2]
	v_mov_b32_e32 v1, 0
	v_mov_b32_e32 v4, 0
	;; [unrolled: 1-line block ×3, first 2 shown]
	v_cmp_lt_u64_e64 s[0:1], s[14:15], 2
	v_mov_b32_e32 v5, 0
	v_mov_b32_e32 v61, v5
	;; [unrolled: 1-line block ×3, first 2 shown]
	s_and_b64 vcc, exec, s[0:1]
	v_mov_b32_e32 v60, v4
	v_mov_b32_e32 v62, v32
	s_cbranch_vccnz .LBB0_8
; %bb.1:
	s_load_dwordx2 s[0:1], s[4:5], 0x10
	s_add_u32 s6, s18, 8
	s_addc_u32 s7, s19, 0
	s_add_u32 s22, s16, 8
	v_mov_b32_e32 v4, 0
	s_addc_u32 s23, s17, 0
	v_mov_b32_e32 v5, 0
	s_waitcnt lgkmcnt(0)
	s_add_u32 s24, s0, 8
	v_mov_b32_e32 v61, v5
	v_mov_b32_e32 v6, v32
	s_addc_u32 s25, s1, 0
	s_mov_b64 s[26:27], 1
	v_mov_b32_e32 v60, v4
	v_mov_b32_e32 v7, v33
.LBB0_2:                                ; =>This Inner Loop Header: Depth=1
	s_load_dwordx2 s[28:29], s[24:25], 0x0
                                        ; implicit-def: $vgpr62_vgpr63
	s_waitcnt lgkmcnt(0)
	v_or_b32_e32 v2, s29, v7
	v_cmp_ne_u64_e32 vcc, 0, v[1:2]
	s_and_saveexec_b64 s[0:1], vcc
	s_xor_b64 s[30:31], exec, s[0:1]
	s_cbranch_execz .LBB0_4
; %bb.3:                                ;   in Loop: Header=BB0_2 Depth=1
	v_cvt_f32_u32_e32 v2, s28
	v_cvt_f32_u32_e32 v3, s29
	s_sub_u32 s0, 0, s28
	s_subb_u32 s1, 0, s29
	v_mac_f32_e32 v2, 0x4f800000, v3
	v_rcp_f32_e32 v2, v2
	v_mul_f32_e32 v2, 0x5f7ffffc, v2
	v_mul_f32_e32 v3, 0x2f800000, v2
	v_trunc_f32_e32 v3, v3
	v_mac_f32_e32 v2, 0xcf800000, v3
	v_cvt_u32_f32_e32 v3, v3
	v_cvt_u32_f32_e32 v2, v2
	v_mul_lo_u32 v8, s0, v3
	v_mul_hi_u32 v9, s0, v2
	v_mul_lo_u32 v11, s1, v2
	v_mul_lo_u32 v10, s0, v2
	v_add_u32_e32 v8, v9, v8
	v_add_u32_e32 v8, v8, v11
	v_mul_hi_u32 v9, v2, v10
	v_mul_lo_u32 v11, v2, v8
	v_mul_hi_u32 v13, v2, v8
	v_mul_hi_u32 v12, v3, v10
	v_mul_lo_u32 v10, v3, v10
	v_mul_hi_u32 v14, v3, v8
	v_add_co_u32_e32 v9, vcc, v9, v11
	v_addc_co_u32_e32 v11, vcc, 0, v13, vcc
	v_mul_lo_u32 v8, v3, v8
	v_add_co_u32_e32 v9, vcc, v9, v10
	v_addc_co_u32_e32 v9, vcc, v11, v12, vcc
	v_addc_co_u32_e32 v10, vcc, 0, v14, vcc
	v_add_co_u32_e32 v8, vcc, v9, v8
	v_addc_co_u32_e32 v9, vcc, 0, v10, vcc
	v_add_co_u32_e32 v2, vcc, v2, v8
	v_addc_co_u32_e32 v3, vcc, v3, v9, vcc
	v_mul_lo_u32 v8, s0, v3
	v_mul_hi_u32 v9, s0, v2
	v_mul_lo_u32 v10, s1, v2
	v_mul_lo_u32 v11, s0, v2
	v_add_u32_e32 v8, v9, v8
	v_add_u32_e32 v8, v8, v10
	v_mul_lo_u32 v12, v2, v8
	v_mul_hi_u32 v13, v2, v11
	v_mul_hi_u32 v14, v2, v8
	;; [unrolled: 1-line block ×3, first 2 shown]
	v_mul_lo_u32 v11, v3, v11
	v_mul_hi_u32 v9, v3, v8
	v_add_co_u32_e32 v12, vcc, v13, v12
	v_addc_co_u32_e32 v13, vcc, 0, v14, vcc
	v_mul_lo_u32 v8, v3, v8
	v_add_co_u32_e32 v11, vcc, v12, v11
	v_addc_co_u32_e32 v10, vcc, v13, v10, vcc
	v_addc_co_u32_e32 v9, vcc, 0, v9, vcc
	v_add_co_u32_e32 v8, vcc, v10, v8
	v_addc_co_u32_e32 v9, vcc, 0, v9, vcc
	v_add_co_u32_e32 v8, vcc, v2, v8
	v_addc_co_u32_e32 v9, vcc, v3, v9, vcc
	v_mad_u64_u32 v[2:3], s[0:1], v6, v9, 0
	v_mul_hi_u32 v10, v6, v8
	v_add_co_u32_e32 v10, vcc, v10, v2
	v_addc_co_u32_e32 v11, vcc, 0, v3, vcc
	v_mad_u64_u32 v[2:3], s[0:1], v7, v8, 0
	v_mad_u64_u32 v[8:9], s[0:1], v7, v9, 0
	v_add_co_u32_e32 v2, vcc, v10, v2
	v_addc_co_u32_e32 v2, vcc, v11, v3, vcc
	v_addc_co_u32_e32 v3, vcc, 0, v9, vcc
	v_add_co_u32_e32 v8, vcc, v2, v8
	v_addc_co_u32_e32 v9, vcc, 0, v3, vcc
	v_mul_lo_u32 v10, s29, v8
	v_mul_lo_u32 v11, s28, v9
	v_mad_u64_u32 v[2:3], s[0:1], s28, v8, 0
	v_add3_u32 v3, v3, v11, v10
	v_sub_u32_e32 v10, v7, v3
	v_mov_b32_e32 v11, s29
	v_sub_co_u32_e32 v2, vcc, v6, v2
	v_subb_co_u32_e64 v10, s[0:1], v10, v11, vcc
	v_subrev_co_u32_e64 v11, s[0:1], s28, v2
	v_subbrev_co_u32_e64 v10, s[0:1], 0, v10, s[0:1]
	v_cmp_le_u32_e64 s[0:1], s29, v10
	v_cndmask_b32_e64 v12, 0, -1, s[0:1]
	v_cmp_le_u32_e64 s[0:1], s28, v11
	v_cndmask_b32_e64 v11, 0, -1, s[0:1]
	v_cmp_eq_u32_e64 s[0:1], s29, v10
	v_cndmask_b32_e64 v10, v12, v11, s[0:1]
	v_add_co_u32_e64 v11, s[0:1], 2, v8
	v_addc_co_u32_e64 v12, s[0:1], 0, v9, s[0:1]
	v_add_co_u32_e64 v13, s[0:1], 1, v8
	v_addc_co_u32_e64 v14, s[0:1], 0, v9, s[0:1]
	v_subb_co_u32_e32 v3, vcc, v7, v3, vcc
	v_cmp_ne_u32_e64 s[0:1], 0, v10
	v_cmp_le_u32_e32 vcc, s29, v3
	v_cndmask_b32_e64 v10, v14, v12, s[0:1]
	v_cndmask_b32_e64 v12, 0, -1, vcc
	v_cmp_le_u32_e32 vcc, s28, v2
	v_cndmask_b32_e64 v2, 0, -1, vcc
	v_cmp_eq_u32_e32 vcc, s29, v3
	v_cndmask_b32_e32 v2, v12, v2, vcc
	v_cmp_ne_u32_e32 vcc, 0, v2
	v_cndmask_b32_e64 v2, v13, v11, s[0:1]
	v_cndmask_b32_e32 v63, v9, v10, vcc
	v_cndmask_b32_e32 v62, v8, v2, vcc
.LBB0_4:                                ;   in Loop: Header=BB0_2 Depth=1
	s_andn2_saveexec_b64 s[0:1], s[30:31]
	s_cbranch_execz .LBB0_6
; %bb.5:                                ;   in Loop: Header=BB0_2 Depth=1
	v_cvt_f32_u32_e32 v2, s28
	s_sub_i32 s30, 0, s28
	v_mov_b32_e32 v63, v1
	v_rcp_iflag_f32_e32 v2, v2
	v_mul_f32_e32 v2, 0x4f7ffffe, v2
	v_cvt_u32_f32_e32 v2, v2
	v_mul_lo_u32 v3, s30, v2
	v_mul_hi_u32 v3, v2, v3
	v_add_u32_e32 v2, v2, v3
	v_mul_hi_u32 v2, v6, v2
	v_mul_lo_u32 v3, v2, s28
	v_add_u32_e32 v8, 1, v2
	v_sub_u32_e32 v3, v6, v3
	v_subrev_u32_e32 v9, s28, v3
	v_cmp_le_u32_e32 vcc, s28, v3
	v_cndmask_b32_e32 v3, v3, v9, vcc
	v_cndmask_b32_e32 v2, v2, v8, vcc
	v_add_u32_e32 v8, 1, v2
	v_cmp_le_u32_e32 vcc, s28, v3
	v_cndmask_b32_e32 v62, v2, v8, vcc
.LBB0_6:                                ;   in Loop: Header=BB0_2 Depth=1
	s_or_b64 exec, exec, s[0:1]
	v_mul_lo_u32 v8, v63, s28
	v_mul_lo_u32 v9, v62, s29
	v_mad_u64_u32 v[2:3], s[0:1], v62, s28, 0
	s_load_dwordx2 s[0:1], s[22:23], 0x0
	s_load_dwordx2 s[28:29], s[6:7], 0x0
	v_add3_u32 v3, v3, v9, v8
	v_sub_co_u32_e32 v2, vcc, v6, v2
	v_subb_co_u32_e32 v3, vcc, v7, v3, vcc
	s_waitcnt lgkmcnt(0)
	v_mul_lo_u32 v6, s0, v3
	v_mul_lo_u32 v7, s1, v2
	v_mad_u64_u32 v[4:5], s[0:1], s0, v2, v[4:5]
	v_mul_lo_u32 v3, s28, v3
	v_mul_lo_u32 v8, s29, v2
	v_mad_u64_u32 v[60:61], s[0:1], s28, v2, v[60:61]
	s_add_u32 s26, s26, 1
	s_addc_u32 s27, s27, 0
	s_add_u32 s6, s6, 8
	v_add3_u32 v61, v8, v61, v3
	s_addc_u32 s7, s7, 0
	v_mov_b32_e32 v2, s14
	s_add_u32 s22, s22, 8
	v_mov_b32_e32 v3, s15
	s_addc_u32 s23, s23, 0
	v_cmp_ge_u64_e32 vcc, s[26:27], v[2:3]
	s_add_u32 s24, s24, 8
	v_add3_u32 v5, v7, v5, v6
	s_addc_u32 s25, s25, 0
	s_cbranch_vccnz .LBB0_8
; %bb.7:                                ;   in Loop: Header=BB0_2 Depth=1
	v_mov_b32_e32 v6, v62
	v_mov_b32_e32 v7, v63
	s_branch .LBB0_2
.LBB0_8:
	s_load_dwordx2 s[0:1], s[4:5], 0x28
	s_lshl_b64 s[14:15], s[14:15], 3
	s_add_u32 s4, s18, s14
	s_addc_u32 s5, s19, s15
                                        ; implicit-def: $sgpr18
                                        ; implicit-def: $vgpr72
                                        ; implicit-def: $vgpr75
                                        ; implicit-def: $vgpr74
                                        ; implicit-def: $vgpr73
	s_waitcnt lgkmcnt(0)
	v_cmp_gt_u64_e32 vcc, s[0:1], v[62:63]
	v_cmp_le_u64_e64 s[0:1], s[0:1], v[62:63]
	s_and_saveexec_b64 s[6:7], s[0:1]
	s_xor_b64 s[0:1], exec, s[6:7]
; %bb.9:
	s_mov_b32 s6, 0x7c1f07d
	v_mul_hi_u32 v1, v0, s6
	s_mov_b32 s18, 0
                                        ; implicit-def: $vgpr4_vgpr5
	v_mul_u32_u24_e32 v1, 33, v1
	v_sub_u32_e32 v72, v0, v1
	v_add_u32_e32 v75, 33, v72
	v_add_u32_e32 v74, 0x42, v72
	v_add_u32_e32 v73, 0x63, v72
                                        ; implicit-def: $vgpr0
; %bb.10:
	s_or_saveexec_b64 s[6:7], s[0:1]
	v_mov_b32_e32 v104, s18
                                        ; implicit-def: $vgpr22_vgpr23
                                        ; implicit-def: $vgpr26_vgpr27
                                        ; implicit-def: $vgpr30_vgpr31
                                        ; implicit-def: $vgpr18_vgpr19
                                        ; implicit-def: $vgpr6_vgpr7
                                        ; implicit-def: $vgpr2_vgpr3
                                        ; implicit-def: $vgpr14_vgpr15
                                        ; implicit-def: $vgpr38_vgpr39
                                        ; implicit-def: $vgpr42_vgpr43
                                        ; implicit-def: $vgpr46_vgpr47
                                        ; implicit-def: $vgpr10_vgpr11
	s_xor_b64 exec, exec, s[6:7]
	s_cbranch_execz .LBB0_12
; %bb.11:
	s_add_u32 s0, s16, s14
	s_mov_b32 s14, 0x7c1f07d
	s_addc_u32 s1, s17, s15
	v_mul_hi_u32 v1, v0, s14
	s_load_dwordx2 s[0:1], s[0:1], 0x0
	v_mul_u32_u24_e32 v1, 33, v1
	v_sub_u32_e32 v72, v0, v1
	s_waitcnt lgkmcnt(0)
	v_mul_lo_u32 v8, s1, v62
	v_mad_u64_u32 v[0:1], s[14:15], s20, v72, 0
	v_mul_lo_u32 v9, s0, v63
	v_mad_u64_u32 v[2:3], s[0:1], s0, v62, 0
	v_add_u32_e32 v75, 33, v72
	v_add_u32_e32 v74, 0x42, v72
	v_mad_u64_u32 v[6:7], s[0:1], s21, v72, v[1:2]
	v_add3_u32 v3, v3, v9, v8
	v_lshlrev_b64 v[2:3], 4, v[2:3]
	v_mov_b32_e32 v1, v6
	v_mov_b32_e32 v6, s9
	v_add_co_u32_e64 v7, s[0:1], s8, v2
	v_addc_co_u32_e64 v6, s[0:1], v6, v3, s[0:1]
	v_lshlrev_b64 v[2:3], 4, v[4:5]
	v_mad_u64_u32 v[4:5], s[0:1], s20, v75, 0
	v_add_co_u32_e64 v8, s[0:1], v7, v2
	v_mov_b32_e32 v2, v5
	v_addc_co_u32_e64 v9, s[0:1], v6, v3, s[0:1]
	v_mad_u64_u32 v[2:3], s[0:1], s21, v75, v[2:3]
	v_mad_u64_u32 v[6:7], s[0:1], s20, v74, 0
	v_lshlrev_b64 v[0:1], 4, v[0:1]
	v_mov_b32_e32 v5, v2
	v_add_co_u32_e64 v33, s[0:1], v8, v0
	v_mov_b32_e32 v2, v7
	v_addc_co_u32_e64 v34, s[0:1], v9, v1, s[0:1]
	v_mad_u64_u32 v[2:3], s[0:1], s21, v74, v[2:3]
	v_add_u32_e32 v73, 0x63, v72
	v_lshlrev_b64 v[0:1], 4, v[4:5]
	v_mad_u64_u32 v[3:4], s[0:1], s20, v73, 0
	v_add_co_u32_e64 v48, s[0:1], v8, v0
	v_mov_b32_e32 v7, v2
	v_mov_b32_e32 v2, v4
	v_addc_co_u32_e64 v49, s[0:1], v9, v1, s[0:1]
	v_lshlrev_b64 v[0:1], 4, v[6:7]
	v_mad_u64_u32 v[4:5], s[0:1], s21, v73, v[2:3]
	v_add_u32_e32 v7, 0x84, v72
	v_mad_u64_u32 v[5:6], s[0:1], s20, v7, 0
	v_add_co_u32_e64 v50, s[0:1], v8, v0
	v_mov_b32_e32 v2, v6
	v_addc_co_u32_e64 v51, s[0:1], v9, v1, s[0:1]
	v_lshlrev_b64 v[0:1], 4, v[3:4]
	v_mad_u64_u32 v[2:3], s[0:1], s21, v7, v[2:3]
	v_add_u32_e32 v7, 0xa5, v72
	v_mad_u64_u32 v[3:4], s[0:1], s20, v7, 0
	v_add_co_u32_e64 v52, s[0:1], v8, v0
	v_mov_b32_e32 v6, v2
	v_mov_b32_e32 v2, v4
	v_addc_co_u32_e64 v53, s[0:1], v9, v1, s[0:1]
	v_lshlrev_b64 v[0:1], 4, v[5:6]
	v_mad_u64_u32 v[4:5], s[0:1], s21, v7, v[2:3]
	v_add_u32_e32 v7, 0xc6, v72
	v_mad_u64_u32 v[5:6], s[0:1], s20, v7, 0
	v_add_co_u32_e64 v54, s[0:1], v8, v0
	v_mov_b32_e32 v2, v6
	v_addc_co_u32_e64 v55, s[0:1], v9, v1, s[0:1]
	v_lshlrev_b64 v[0:1], 4, v[3:4]
	v_mad_u64_u32 v[2:3], s[0:1], s21, v7, v[2:3]
	v_add_u32_e32 v7, 0xe7, v72
	;; [unrolled: 15-line block ×3, first 2 shown]
	v_mad_u64_u32 v[3:4], s[0:1], s20, v7, 0
	v_add_co_u32_e64 v64, s[0:1], v8, v0
	v_mov_b32_e32 v6, v2
	v_mov_b32_e32 v2, v4
	v_addc_co_u32_e64 v65, s[0:1], v9, v1, s[0:1]
	v_lshlrev_b64 v[0:1], 4, v[5:6]
	v_mad_u64_u32 v[4:5], s[0:1], s21, v7, v[2:3]
	v_add_u32_e32 v7, 0x14a, v72
	v_mad_u64_u32 v[5:6], s[0:1], s20, v7, 0
	v_add_co_u32_e64 v66, s[0:1], v8, v0
	v_mov_b32_e32 v2, v6
	v_addc_co_u32_e64 v67, s[0:1], v9, v1, s[0:1]
	v_lshlrev_b64 v[0:1], 4, v[3:4]
	v_mad_u64_u32 v[2:3], s[0:1], s21, v7, v[2:3]
	v_add_co_u32_e64 v68, s[0:1], v8, v0
	v_mov_b32_e32 v6, v2
	v_addc_co_u32_e64 v69, s[0:1], v9, v1, s[0:1]
	v_lshlrev_b64 v[0:1], 4, v[5:6]
	v_mov_b32_e32 v104, v72
	v_add_co_u32_e64 v70, s[0:1], v8, v0
	v_addc_co_u32_e64 v71, s[0:1], v9, v1, s[0:1]
	global_load_dwordx4 v[8:11], v[33:34], off
	global_load_dwordx4 v[44:47], v[48:49], off
	;; [unrolled: 1-line block ×11, first 2 shown]
.LBB0_12:
	s_or_b64 exec, exec, s[6:7]
	s_waitcnt vmcnt(9)
	v_add_f64 v[33:34], v[44:45], v[8:9]
	s_mov_b32 s20, 0xaaaaaaab
	s_waitcnt vmcnt(0)
	v_add_f64 v[48:49], v[20:21], v[44:45]
	v_mul_hi_u32 v35, v32, s20
	s_mov_b32 s6, 0x8764f0ba
	s_mov_b32 s7, 0x3feaeb8c
	v_add_f64 v[50:51], v[46:47], -v[22:23]
	v_add_f64 v[52:53], v[24:25], v[40:41]
	v_add_f64 v[33:34], v[40:41], v[33:34]
	s_mov_b32 s22, 0xf8bb580b
	s_mov_b32 s8, 0xd9c712b6
	;; [unrolled: 1-line block ×7, first 2 shown]
	v_add_f64 v[33:34], v[36:37], v[33:34]
	s_mov_b32 s9, 0x3fda9628
	s_mov_b32 s15, 0xbfc2375f
	;; [unrolled: 1-line block ×5, first 2 shown]
	v_add_f64 v[54:55], v[42:43], -v[26:27]
	v_mul_f64 v[58:59], v[48:49], s[8:9]
	v_add_f64 v[33:34], v[12:13], v[33:34]
	v_mul_f64 v[64:65], v[48:49], s[14:15]
	v_mul_f64 v[66:67], v[48:49], s[16:17]
	;; [unrolled: 1-line block ×3, first 2 shown]
	s_mov_b32 s18, 0x8eee2c13
	s_mov_b32 s34, 0x43842ef
	;; [unrolled: 1-line block ×4, first 2 shown]
	v_add_f64 v[33:34], v[0:1], v[33:34]
	s_mov_b32 s19, 0x3fed1bb4
	s_mov_b32 s39, 0xbfed1bb4
	;; [unrolled: 1-line block ×7, first 2 shown]
	v_add_f64 v[56:57], v[4:5], v[33:34]
	v_lshrrev_b32_e32 v33, 1, v35
	v_lshl_add_u32 v33, v33, 1, v33
	v_sub_u32_e32 v32, v32, v33
	v_mul_u32_u24_e32 v34, 0x16b, v32
	v_mul_f64 v[32:33], v[48:49], s[6:7]
	v_mul_f64 v[48:49], v[48:49], s[26:27]
	s_mov_b32 s31, 0xbfd207e7
	s_mov_b32 s38, s18
	;; [unrolled: 1-line block ×5, first 2 shown]
	v_mul_f64 v[70:71], v[52:53], s[16:17]
	v_fma_f64 v[76:77], v[50:51], s[22:23], v[32:33]
	v_fma_f64 v[32:33], v[50:51], s[28:29], v[32:33]
	;; [unrolled: 1-line block ×9, first 2 shown]
	v_add_f64 v[76:77], v[8:9], v[76:77]
	v_add_f64 v[32:33], v[8:9], v[32:33]
	v_fma_f64 v[48:49], v[50:51], s[30:31], v[48:49]
	v_fma_f64 v[50:51], v[54:55], s[18:19], v[68:69]
	;; [unrolled: 1-line block ×3, first 2 shown]
	v_mul_f64 v[86:87], v[52:53], s[26:27]
	v_add_f64 v[78:79], v[8:9], v[78:79]
	v_add_f64 v[58:59], v[8:9], v[58:59]
	;; [unrolled: 1-line block ×7, first 2 shown]
	v_fma_f64 v[88:89], v[54:55], s[0:1], v[70:71]
	v_add_f64 v[8:9], v[8:9], v[48:49]
	v_add_f64 v[48:49], v[50:51], v[76:77]
	v_fma_f64 v[50:51], v[54:55], s[24:25], v[70:71]
	v_mul_f64 v[70:71], v[52:53], s[14:15]
	v_add_f64 v[32:33], v[68:69], v[32:33]
	v_add_f64 v[68:69], v[28:29], v[36:37]
	v_fma_f64 v[76:77], v[54:55], s[30:31], v[86:87]
	v_mul_f64 v[52:53], v[52:53], s[6:7]
	v_fma_f64 v[86:87], v[54:55], s[36:37], v[86:87]
	v_add_f64 v[78:79], v[88:89], v[78:79]
	v_add_f64 v[50:51], v[50:51], v[58:59]
	v_fma_f64 v[58:59], v[54:55], s[20:21], v[70:71]
	v_add_f64 v[88:89], v[38:39], -v[30:31]
	v_mul_f64 v[90:91], v[68:69], s[14:15]
	v_add_f64 v[76:77], v[76:77], v[80:81]
	v_fma_f64 v[70:71], v[54:55], s[34:35], v[70:71]
	v_fma_f64 v[80:81], v[54:55], s[28:29], v[52:53]
	v_add_f64 v[64:65], v[86:87], v[64:65]
	v_mul_f64 v[86:87], v[68:69], s[26:27]
	v_fma_f64 v[52:53], v[54:55], s[22:23], v[52:53]
	v_add_f64 v[58:59], v[58:59], v[82:83]
	v_fma_f64 v[54:55], v[88:89], s[34:35], v[90:91]
	v_fma_f64 v[82:83], v[88:89], s[20:21], v[90:91]
	v_add_f64 v[66:67], v[70:71], v[66:67]
	v_add_f64 v[70:71], v[80:81], v[84:85]
	v_mul_f64 v[80:81], v[68:69], s[8:9]
	v_fma_f64 v[84:85], v[88:89], s[30:31], v[86:87]
	v_fma_f64 v[86:87], v[88:89], s[36:37], v[86:87]
	v_add_f64 v[8:9], v[52:53], v[8:9]
	v_add_f64 v[52:53], v[16:17], v[12:13]
	;; [unrolled: 1-line block ×4, first 2 shown]
	v_mul_f64 v[54:55], v[68:69], s[6:7]
	v_fma_f64 v[82:83], v[88:89], s[38:39], v[80:81]
	v_add_f64 v[78:79], v[84:85], v[78:79]
	v_add_f64 v[50:51], v[86:87], v[50:51]
	v_mul_f64 v[68:69], v[68:69], s[16:17]
	v_fma_f64 v[80:81], v[88:89], s[18:19], v[80:81]
	v_add_f64 v[84:85], v[14:15], -v[18:19]
	v_mul_f64 v[86:87], v[52:53], s[16:17]
	v_fma_f64 v[90:91], v[88:89], s[22:23], v[54:55]
	v_add_f64 v[76:77], v[82:83], v[76:77]
	v_mul_f64 v[82:83], v[52:53], s[14:15]
	v_fma_f64 v[54:55], v[88:89], s[28:29], v[54:55]
	v_fma_f64 v[92:93], v[88:89], s[0:1], v[68:69]
	v_add_f64 v[64:65], v[80:81], v[64:65]
	v_fma_f64 v[68:69], v[88:89], s[24:25], v[68:69]
	v_fma_f64 v[80:81], v[84:85], s[0:1], v[86:87]
	;; [unrolled: 1-line block ×3, first 2 shown]
	v_add_f64 v[56:57], v[16:17], v[56:57]
	v_fma_f64 v[88:89], v[84:85], s[20:21], v[82:83]
	v_add_f64 v[54:55], v[54:55], v[66:67]
	v_add_f64 v[66:67], v[92:93], v[70:71]
	v_mul_f64 v[70:71], v[52:53], s[6:7]
	v_add_f64 v[8:9], v[68:69], v[8:9]
	v_add_f64 v[48:49], v[80:81], v[48:49]
	v_mul_f64 v[68:69], v[52:53], s[26:27]
	v_add_f64 v[80:81], v[4:5], v[0:1]
	v_fma_f64 v[82:83], v[84:85], s[34:35], v[82:83]
	v_mul_f64 v[52:53], v[52:53], s[8:9]
	v_add_f64 v[58:59], v[90:91], v[58:59]
	v_add_f64 v[32:33], v[86:87], v[32:33]
	;; [unrolled: 1-line block ×3, first 2 shown]
	v_fma_f64 v[86:87], v[84:85], s[22:23], v[70:71]
	v_fma_f64 v[70:71], v[84:85], s[28:29], v[70:71]
	v_fma_f64 v[88:89], v[84:85], s[36:37], v[68:69]
	v_fma_f64 v[68:69], v[84:85], s[30:31], v[68:69]
	v_add_f64 v[90:91], v[2:3], -v[6:7]
	v_mul_f64 v[92:93], v[80:81], s[26:27]
	v_add_f64 v[50:51], v[82:83], v[50:51]
	v_fma_f64 v[82:83], v[84:85], s[38:39], v[52:53]
	v_fma_f64 v[52:53], v[84:85], s[18:19], v[52:53]
	v_add_f64 v[56:57], v[28:29], v[56:57]
	v_add_f64 v[70:71], v[70:71], v[64:65]
	;; [unrolled: 1-line block ×3, first 2 shown]
	v_mul_f64 v[84:85], v[80:81], s[6:7]
	v_fma_f64 v[64:65], v[90:91], s[36:37], v[92:93]
	v_fma_f64 v[68:69], v[90:91], s[30:31], v[92:93]
	v_add_f64 v[66:67], v[82:83], v[66:67]
	v_mul_f64 v[82:83], v[80:81], s[16:17]
	v_add_f64 v[76:77], v[86:87], v[76:77]
	v_mul_f64 v[86:87], v[80:81], s[8:9]
	;; [unrolled: 2-line block ×3, first 2 shown]
	v_add_f64 v[56:57], v[24:25], v[56:57]
	v_add_f64 v[48:49], v[64:65], v[48:49]
	;; [unrolled: 1-line block ×3, first 2 shown]
	v_fma_f64 v[64:65], v[90:91], s[28:29], v[84:85]
	v_fma_f64 v[68:69], v[90:91], s[22:23], v[84:85]
	;; [unrolled: 1-line block ×3, first 2 shown]
	v_add_f64 v[58:59], v[88:89], v[58:59]
	v_fma_f64 v[84:85], v[90:91], s[38:39], v[86:87]
	v_fma_f64 v[88:89], v[90:91], s[34:35], v[52:53]
	;; [unrolled: 1-line block ×5, first 2 shown]
	v_add_f64 v[56:57], v[20:21], v[56:57]
	v_add_f64 v[78:79], v[64:65], v[78:79]
	;; [unrolled: 1-line block ×9, first 2 shown]
	v_lshl_add_u32 v35, v34, 3, 0
	s_movk_i32 s0, 0x58
	v_mad_u32_u24 v8, v72, s0, v35
	s_movk_i32 s0, 0xffb0
	v_mad_i32_i24 v76, v72, s0, v8
	v_lshl_add_u32 v77, v72, 3, v35
	v_add_u32_e32 v9, 0x800, v76
	s_load_dwordx2 s[4:5], s[4:5], 0x0
	ds_write2_b64 v8, v[56:57], v[48:49] offset1:1
	ds_write2_b64 v8, v[78:79], v[50:51] offset0:2 offset1:3
	ds_write2_b64 v8, v[58:59], v[66:67] offset0:4 offset1:5
	;; [unrolled: 1-line block ×4, first 2 shown]
	ds_write_b64 v8, v[32:33] offset:80
	s_waitcnt lgkmcnt(0)
	s_barrier
	ds_read2_b64 v[52:55], v76 offset0:121 offset1:154
	ds_read2_b64 v[48:51], v76 offset0:187 offset1:242
	v_lshl_add_u32 v78, v75, 3, v35
	ds_read2_b64 v[56:59], v9 offset0:19 offset1:52
	v_lshl_add_u32 v79, v74, 3, v35
	ds_read_b64 v[70:71], v77
	ds_read_b64 v[68:69], v78
	;; [unrolled: 1-line block ×3, first 2 shown]
	v_cmp_gt_u32_e64 s[0:1], 22, v72
	v_lshlrev_b32_e32 v81, 3, v73
	v_lshlrev_b32_e32 v80, 3, v34
	s_and_saveexec_b64 s[40:41], s[0:1]
	s_cbranch_execz .LBB0_14
; %bb.13:
	v_add3_u32 v32, 0, v81, v80
	ds_read_b64 v[64:65], v32
	v_add_u32_e32 v32, 0x400, v76
	ds_read2_b64 v[32:35], v32 offset0:92 offset1:213
.LBB0_14:
	s_or_b64 exec, exec, s[40:41]
	v_add_f64 v[82:83], v[46:47], v[10:11]
	v_add_f64 v[28:29], v[36:37], -v[28:29]
	v_add_f64 v[20:21], v[44:45], -v[20:21]
	v_add_f64 v[44:45], v[22:23], v[46:47]
	v_add_f64 v[46:47], v[26:27], v[42:43]
	v_add_f64 v[24:25], v[40:41], -v[24:25]
	v_add_f64 v[40:41], v[30:31], v[38:39]
	v_add_f64 v[12:13], v[12:13], -v[16:17]
	v_add_f64 v[36:37], v[42:43], v[82:83]
	v_mul_f64 v[94:95], v[28:29], s[20:21]
	v_mul_f64 v[42:43], v[20:21], s[28:29]
	;; [unrolled: 1-line block ×7, first 2 shown]
	v_add_f64 v[36:37], v[38:39], v[36:37]
	v_mul_f64 v[90:91], v[24:25], s[24:25]
	v_mul_f64 v[92:93], v[24:25], s[36:37]
	v_fma_f64 v[100:101], v[44:45], s[6:7], v[42:43]
	v_fma_f64 v[42:43], v[44:45], s[6:7], -v[42:43]
	v_fma_f64 v[102:103], v[44:45], s[8:9], v[82:83]
	v_fma_f64 v[82:83], v[44:45], s[8:9], -v[82:83]
	v_fma_f64 v[105:106], v[44:45], s[14:15], v[84:85]
	v_add_f64 v[36:37], v[14:15], v[36:37]
	v_mul_f64 v[38:39], v[24:25], s[34:35]
	v_mul_f64 v[24:25], v[24:25], s[22:23]
	;; [unrolled: 1-line block ×4, first 2 shown]
	v_fma_f64 v[84:85], v[44:45], s[14:15], -v[84:85]
	v_fma_f64 v[107:108], v[44:45], s[16:17], v[86:87]
	v_fma_f64 v[86:87], v[44:45], s[16:17], -v[86:87]
	v_add_f64 v[36:37], v[2:3], v[36:37]
	v_fma_f64 v[109:110], v[44:45], s[26:27], v[20:21]
	v_fma_f64 v[20:21], v[44:45], s[26:27], -v[20:21]
	v_fma_f64 v[44:45], v[46:47], s[8:9], v[88:89]
	v_fma_f64 v[88:89], v[46:47], s[8:9], -v[88:89]
	;; [unrolled: 2-line block ×3, first 2 shown]
	v_fma_f64 v[113:114], v[46:47], s[26:27], v[92:93]
	v_add_f64 v[36:37], v[6:7], v[36:37]
	v_add_f64 v[100:101], v[10:11], v[100:101]
	;; [unrolled: 1-line block ×6, first 2 shown]
	v_fma_f64 v[92:93], v[46:47], s[26:27], -v[92:93]
	v_fma_f64 v[115:116], v[46:47], s[14:15], v[38:39]
	v_add_f64 v[36:37], v[18:19], v[36:37]
	v_fma_f64 v[38:39], v[46:47], s[14:15], -v[38:39]
	v_fma_f64 v[117:118], v[46:47], s[6:7], v[24:25]
	v_fma_f64 v[24:25], v[46:47], s[6:7], -v[24:25]
	v_fma_f64 v[46:47], v[40:41], s[14:15], v[94:95]
	;; [unrolled: 2-line block ×3, first 2 shown]
	v_add_f64 v[84:85], v[10:11], v[84:85]
	v_add_f64 v[30:31], v[30:31], v[36:37]
	;; [unrolled: 1-line block ×12, first 2 shown]
	v_mul_f64 v[16:17], v[28:29], s[28:29]
	v_mul_f64 v[28:29], v[28:29], s[24:25]
	v_fma_f64 v[96:97], v[40:41], s[26:27], -v[96:97]
	v_add_f64 v[84:85], v[92:93], v[84:85]
	v_add_f64 v[36:37], v[115:116], v[36:37]
	;; [unrolled: 1-line block ×3, first 2 shown]
	v_fma_f64 v[26:27], v[40:41], s[8:9], v[98:99]
	v_add_f64 v[10:11], v[24:25], v[10:11]
	v_add_f64 v[20:21], v[46:47], v[20:21]
	;; [unrolled: 1-line block ×4, first 2 shown]
	v_fma_f64 v[44:45], v[40:41], s[8:9], -v[98:99]
	v_add_f64 v[14:15], v[18:19], v[14:15]
	v_mul_f64 v[18:19], v[12:13], s[24:25]
	v_fma_f64 v[46:47], v[40:41], s[6:7], v[16:17]
	v_add_f64 v[26:27], v[26:27], v[82:83]
	v_mul_f64 v[82:83], v[12:13], s[34:35]
	v_fma_f64 v[88:89], v[40:41], s[16:17], v[28:29]
	v_fma_f64 v[28:29], v[40:41], s[16:17], -v[28:29]
	v_add_f64 v[38:39], v[38:39], v[86:87]
	v_add_f64 v[86:87], v[117:118], v[107:108]
	;; [unrolled: 1-line block ×3, first 2 shown]
	v_fma_f64 v[16:17], v[40:41], s[6:7], -v[16:17]
	v_add_f64 v[44:45], v[44:45], v[84:85]
	v_fma_f64 v[40:41], v[14:15], s[16:17], v[18:19]
	v_add_f64 v[36:37], v[46:47], v[36:37]
	v_fma_f64 v[18:19], v[14:15], s[16:17], -v[18:19]
	v_fma_f64 v[46:47], v[14:15], s[14:15], v[82:83]
	v_mul_f64 v[84:85], v[12:13], s[28:29]
	v_add_f64 v[10:11], v[28:29], v[10:11]
	v_mul_f64 v[28:29], v[12:13], s[30:31]
	v_add_f64 v[0:1], v[0:1], -v[4:5]
	v_fma_f64 v[4:5], v[14:15], s[14:15], -v[82:83]
	v_mul_f64 v[12:13], v[12:13], s[18:19]
	v_add_f64 v[16:17], v[16:17], v[38:39]
	v_add_f64 v[38:39], v[88:89], v[86:87]
	;; [unrolled: 1-line block ×4, first 2 shown]
	v_fma_f64 v[46:47], v[14:15], s[26:27], v[28:29]
	v_fma_f64 v[28:29], v[14:15], s[26:27], -v[28:29]
	v_add_f64 v[2:3], v[6:7], v[2:3]
	v_mul_f64 v[6:7], v[0:1], s[30:31]
	v_add_f64 v[4:5], v[4:5], v[30:31]
	v_fma_f64 v[30:31], v[14:15], s[8:9], v[12:13]
	v_add_f64 v[20:21], v[40:41], v[20:21]
	v_fma_f64 v[40:41], v[14:15], s[6:7], v[84:85]
	v_fma_f64 v[42:43], v[14:15], s[6:7], -v[84:85]
	v_fma_f64 v[12:13], v[14:15], s[8:9], -v[12:13]
	v_add_f64 v[14:15], v[28:29], v[16:17]
	v_fma_f64 v[16:17], v[2:3], s[26:27], v[6:7]
	v_fma_f64 v[6:7], v[2:3], s[26:27], -v[6:7]
	v_mul_f64 v[28:29], v[0:1], s[22:23]
	v_add_f64 v[30:31], v[30:31], v[38:39]
	v_mul_f64 v[38:39], v[0:1], s[24:25]
	v_add_f64 v[26:27], v[40:41], v[26:27]
	v_add_f64 v[40:41], v[42:43], v[44:45]
	v_mul_f64 v[42:43], v[0:1], s[18:19]
	v_add_f64 v[10:11], v[12:13], v[10:11]
	v_mul_f64 v[12:13], v[0:1], s[20:21]
	v_add_f64 v[16:17], v[16:17], v[20:21]
	v_add_f64 v[0:1], v[6:7], v[18:19]
	v_fma_f64 v[6:7], v[2:3], s[6:7], v[28:29]
	v_fma_f64 v[18:19], v[2:3], s[6:7], -v[28:29]
	v_fma_f64 v[20:21], v[2:3], s[16:17], v[38:39]
	v_add_f64 v[36:37], v[46:47], v[36:37]
	v_fma_f64 v[28:29], v[2:3], s[8:9], v[42:43]
	v_fma_f64 v[44:45], v[2:3], s[14:15], v[12:13]
	v_fma_f64 v[42:43], v[2:3], s[8:9], -v[42:43]
	v_fma_f64 v[12:13], v[2:3], s[14:15], -v[12:13]
	;; [unrolled: 1-line block ×3, first 2 shown]
	v_add_f64 v[6:7], v[6:7], v[24:25]
	v_add_f64 v[18:19], v[18:19], v[4:5]
	v_add_f64 v[4:5], v[20:21], v[26:27]
	v_add_f64 v[20:21], v[28:29], v[36:37]
	v_add_f64 v[24:25], v[44:45], v[30:31]
	v_add_f64 v[14:15], v[42:43], v[14:15]
	v_add_f64 v[10:11], v[12:13], v[10:11]
	v_add_f64 v[2:3], v[2:3], v[40:41]
	s_waitcnt lgkmcnt(0)
	s_barrier
	ds_write2_b64 v8, v[22:23], v[16:17] offset1:1
	ds_write2_b64 v8, v[6:7], v[4:5] offset0:2 offset1:3
	ds_write2_b64 v8, v[20:21], v[24:25] offset0:4 offset1:5
	ds_write2_b64 v8, v[10:11], v[14:15] offset0:6 offset1:7
	ds_write2_b64 v8, v[2:3], v[18:19] offset0:8 offset1:9
	ds_write_b64 v8, v[0:1] offset:80
	s_waitcnt lgkmcnt(0)
	s_barrier
	ds_read2_b64 v[12:15], v76 offset0:121 offset1:154
	ds_read2_b64 v[4:7], v76 offset0:187 offset1:242
	;; [unrolled: 1-line block ×3, first 2 shown]
	ds_read_b64 v[22:23], v77
	ds_read_b64 v[20:21], v78
	;; [unrolled: 1-line block ×3, first 2 shown]
	s_and_saveexec_b64 s[6:7], s[0:1]
	s_cbranch_execz .LBB0_16
; %bb.15:
	v_add3_u32 v0, 0, v81, v80
	ds_read_b64 v[18:19], v0
	v_add_u32_e32 v0, 0x400, v76
	ds_read2_b64 v[0:3], v0 offset0:92 offset1:213
.LBB0_16:
	s_or_b64 exec, exec, s[6:7]
	s_movk_i32 s6, 0x75
	v_mul_lo_u16_sdwa v24, v72, s6 dst_sel:DWORD dst_unused:UNUSED_PAD src0_sel:BYTE_0 src1_sel:DWORD
	v_sub_u16_sdwa v25, v72, v24 dst_sel:DWORD dst_unused:UNUSED_PAD src0_sel:DWORD src1_sel:BYTE_1
	v_lshrrev_b16_e32 v25, 1, v25
	v_and_b32_e32 v25, 0x7f, v25
	v_add_u16_sdwa v24, v25, v24 dst_sel:DWORD dst_unused:UNUSED_PAD src0_sel:DWORD src1_sel:BYTE_1
	v_lshrrev_b16_e32 v36, 3, v24
	v_mul_lo_u16_e32 v24, 11, v36
	v_sub_u16_e32 v37, v72, v24
	v_mov_b32_e32 v38, 5
	v_lshlrev_b32_sdwa v39, v38, v37 dst_sel:DWORD dst_unused:UNUSED_PAD src0_sel:DWORD src1_sel:BYTE_0
	global_load_dwordx4 v[24:27], v39, s[12:13] offset:16
	global_load_dwordx4 v[28:31], v39, s[12:13]
	v_mul_lo_u16_sdwa v39, v75, s6 dst_sel:DWORD dst_unused:UNUSED_PAD src0_sel:BYTE_0 src1_sel:DWORD
	v_sub_u16_sdwa v40, v75, v39 dst_sel:DWORD dst_unused:UNUSED_PAD src0_sel:DWORD src1_sel:BYTE_1
	v_lshrrev_b16_e32 v40, 1, v40
	v_and_b32_e32 v40, 0x7f, v40
	v_add_u16_sdwa v39, v40, v39 dst_sel:DWORD dst_unused:UNUSED_PAD src0_sel:DWORD src1_sel:BYTE_1
	v_lshrrev_b16_e32 v39, 3, v39
	v_mul_lo_u16_e32 v40, 11, v39
	v_sub_u16_e32 v40, v75, v40
	v_lshlrev_b32_sdwa v41, v38, v40 dst_sel:DWORD dst_unused:UNUSED_PAD src0_sel:DWORD src1_sel:BYTE_0
	global_load_dwordx4 v[42:45], v41, s[12:13] offset:16
	global_load_dwordx4 v[84:87], v41, s[12:13]
	v_mul_lo_u16_sdwa v41, v74, s6 dst_sel:DWORD dst_unused:UNUSED_PAD src0_sel:BYTE_0 src1_sel:DWORD
	v_sub_u16_sdwa v46, v74, v41 dst_sel:DWORD dst_unused:UNUSED_PAD src0_sel:DWORD src1_sel:BYTE_1
	v_lshrrev_b16_e32 v46, 1, v46
	v_and_b32_e32 v46, 0x7f, v46
	v_add_u16_sdwa v41, v46, v41 dst_sel:DWORD dst_unused:UNUSED_PAD src0_sel:DWORD src1_sel:BYTE_1
	v_lshrrev_b16_e32 v41, 3, v41
	v_mul_lo_u16_e32 v46, 11, v41
	v_sub_u16_e32 v46, v74, v46
	;; [unrolled: 11-line block ×3, first 2 shown]
	v_lshlrev_b32_sdwa v38, v38, v73 dst_sel:DWORD dst_unused:UNUSED_PAD src0_sel:DWORD src1_sel:BYTE_0
	global_load_dwordx4 v[96:99], v38, s[12:13]
	global_load_dwordx4 v[100:103], v38, s[12:13] offset:16
	s_movk_i32 s16, 0x108
	v_mov_b32_e32 v83, 3
	v_mad_u32_u24 v36, v36, s16, 0
	v_mad_u32_u24 v38, v39, s16, 0
	v_lshlrev_b32_sdwa v37, v83, v37 dst_sel:DWORD dst_unused:UNUSED_PAD src0_sel:DWORD src1_sel:BYTE_0
	v_lshlrev_b32_sdwa v39, v83, v40 dst_sel:DWORD dst_unused:UNUSED_PAD src0_sel:DWORD src1_sel:BYTE_0
	v_add3_u32 v82, v36, v37, v80
	v_add3_u32 v75, v38, v39, v80
	v_mad_u32_u24 v115, v41, s16, 0
	v_lshlrev_b32_sdwa v116, v83, v46 dst_sel:DWORD dst_unused:UNUSED_PAD src0_sel:DWORD src1_sel:BYTE_0
	s_mov_b32 s6, 0xe8584caa
	s_mov_b32 s7, 0x3febb67a
	;; [unrolled: 1-line block ×4, first 2 shown]
	s_waitcnt vmcnt(0) lgkmcnt(0)
	s_barrier
	v_mul_f64 v[38:39], v[6:7], v[26:27]
	v_mul_f64 v[36:37], v[12:13], v[30:31]
	v_mul_f64 v[30:31], v[52:53], v[30:31]
	v_mul_f64 v[26:27], v[50:51], v[26:27]
	v_fma_f64 v[38:39], v[50:51], v[24:25], -v[38:39]
	v_fma_f64 v[36:37], v[52:53], v[28:29], -v[36:37]
	v_mul_f64 v[105:106], v[56:57], v[44:45]
	v_mul_f64 v[40:41], v[14:15], v[86:87]
	;; [unrolled: 1-line block ×4, first 2 shown]
	v_fma_f64 v[52:53], v[12:13], v[28:29], v[30:31]
	v_fma_f64 v[6:7], v[6:7], v[24:25], v[26:27]
	v_add_f64 v[30:31], v[70:71], v[36:37]
	v_fma_f64 v[8:9], v[8:9], v[42:43], v[105:106]
	v_fma_f64 v[12:13], v[54:55], v[84:85], -v[40:41]
	v_mul_f64 v[109:110], v[10:11], v[90:91]
	v_mul_f64 v[107:108], v[4:5], v[94:95]
	;; [unrolled: 1-line block ×4, first 2 shown]
	v_fma_f64 v[40:41], v[56:57], v[42:43], -v[86:87]
	v_fma_f64 v[44:45], v[14:15], v[84:85], v[46:47]
	v_fma_f64 v[42:43], v[58:59], v[88:89], -v[109:110]
	v_fma_f64 v[14:15], v[48:49], v[92:93], -v[107:108]
	v_mul_f64 v[111:112], v[0:1], v[98:99]
	v_mul_f64 v[98:99], v[32:33], v[98:99]
	;; [unrolled: 1-line block ×3, first 2 shown]
	v_fma_f64 v[46:47], v[4:5], v[92:93], v[94:95]
	v_fma_f64 v[4:5], v[10:11], v[88:89], v[90:91]
	v_add_f64 v[10:11], v[12:13], v[40:41]
	v_mul_f64 v[102:103], v[34:35], v[102:103]
	v_add_f64 v[48:49], v[68:69], v[12:13]
	v_fma_f64 v[24:25], v[32:33], v[96:97], -v[111:112]
	v_fma_f64 v[26:27], v[0:1], v[96:97], v[98:99]
	v_add_f64 v[0:1], v[36:37], v[38:39]
	v_add_f64 v[32:33], v[14:15], v[42:43]
	v_fma_f64 v[28:29], v[34:35], v[100:101], -v[113:114]
	v_add_f64 v[34:35], v[52:53], -v[6:7]
	v_add_f64 v[54:55], v[44:45], -v[8:9]
	v_fma_f64 v[10:11], v[10:11], -0.5, v[68:69]
	v_add_f64 v[50:51], v[66:67], v[14:15]
	v_add_f64 v[56:57], v[46:47], -v[4:5]
	v_fma_f64 v[0:1], v[0:1], -0.5, v[70:71]
	v_fma_f64 v[32:33], v[32:33], -0.5, v[66:67]
	v_add_f64 v[58:59], v[30:31], v[38:39]
	v_fma_f64 v[30:31], v[2:3], v[100:101], v[102:103]
	v_add_f64 v[48:49], v[48:49], v[40:41]
	v_add_f64 v[50:51], v[50:51], v[42:43]
	v_fma_f64 v[66:67], v[34:35], s[6:7], v[0:1]
	v_fma_f64 v[0:1], v[34:35], s[8:9], v[0:1]
	;; [unrolled: 1-line block ×6, first 2 shown]
	v_add3_u32 v33, v115, v116, v80
	ds_write2_b64 v82, v[58:59], v[66:67] offset1:11
	ds_write_b64 v82, v[0:1] offset:176
	ds_write2_b64 v75, v[48:49], v[34:35] offset1:11
	ds_write_b64 v75, v[10:11] offset:176
	;; [unrolled: 2-line block ×3, first 2 shown]
	s_and_saveexec_b64 s[14:15], s[0:1]
	s_cbranch_execz .LBB0_18
; %bb.17:
	v_add_f64 v[0:1], v[24:25], v[28:29]
	v_add_f64 v[2:3], v[26:27], -v[30:31]
	v_add_f64 v[10:11], v[64:65], v[24:25]
	v_fma_f64 v[0:1], v[0:1], -0.5, v[64:65]
	v_add_f64 v[10:11], v[10:11], v[28:29]
	v_fma_f64 v[34:35], v[2:3], s[6:7], v[0:1]
	v_fma_f64 v[0:1], v[2:3], s[8:9], v[0:1]
	v_mad_u32_u24 v2, v74, s16, 0
	v_lshlrev_b32_sdwa v3, v83, v73 dst_sel:DWORD dst_unused:UNUSED_PAD src0_sel:DWORD src1_sel:BYTE_0
	v_add3_u32 v2, v2, v3, v80
	ds_write2_b64 v2, v[10:11], v[34:35] offset1:11
	ds_write_b64 v2, v[0:1] offset:176
.LBB0_18:
	s_or_b64 exec, exec, s[14:15]
	v_add_f64 v[0:1], v[52:53], v[6:7]
	v_add_f64 v[2:3], v[44:45], v[8:9]
	;; [unrolled: 1-line block ×4, first 2 shown]
	v_add_f64 v[36:37], v[36:37], -v[38:39]
	v_add_f64 v[38:39], v[20:21], v[44:45]
	v_add_f64 v[12:13], v[12:13], -v[40:41]
	v_add_f64 v[14:15], v[14:15], -v[42:43]
	v_fma_f64 v[0:1], v[0:1], -0.5, v[22:23]
	v_fma_f64 v[2:3], v[2:3], -0.5, v[20:21]
	v_add_f64 v[20:21], v[16:17], v[46:47]
	v_fma_f64 v[16:17], v[34:35], -0.5, v[16:17]
	v_add_f64 v[34:35], v[10:11], v[6:7]
	v_add3_u32 v32, 0, v81, v80
	v_add_f64 v[38:39], v[38:39], v[8:9]
	s_waitcnt lgkmcnt(0)
	v_fma_f64 v[40:41], v[36:37], s[8:9], v[0:1]
	v_fma_f64 v[36:37], v[36:37], s[6:7], v[0:1]
	v_add_u32_e32 v0, 0x800, v76
	v_fma_f64 v[42:43], v[12:13], s[8:9], v[2:3]
	v_fma_f64 v[44:45], v[12:13], s[6:7], v[2:3]
	v_add_f64 v[46:47], v[20:21], v[4:5]
	v_fma_f64 v[48:49], v[14:15], s[8:9], v[16:17]
	v_fma_f64 v[50:51], v[14:15], s[6:7], v[16:17]
	s_barrier
	ds_read_b64 v[16:17], v77
	ds_read_b64 v[12:13], v79
	;; [unrolled: 1-line block ×3, first 2 shown]
	ds_read2_b64 v[4:7], v76 offset0:132 offset1:165
	ds_read2_b64 v[8:11], v76 offset0:198 offset1:231
	;; [unrolled: 1-line block ×3, first 2 shown]
	ds_read_b64 v[14:15], v78
	ds_read_b64 v[22:23], v76 offset:2640
	s_waitcnt lgkmcnt(0)
	s_barrier
	ds_write2_b64 v82, v[34:35], v[40:41] offset1:11
	ds_write_b64 v82, v[36:37] offset:176
	ds_write2_b64 v75, v[38:39], v[42:43] offset1:11
	ds_write_b64 v75, v[44:45] offset:176
	;; [unrolled: 2-line block ×3, first 2 shown]
	s_and_saveexec_b64 s[6:7], s[0:1]
	s_cbranch_execz .LBB0_20
; %bb.19:
	v_add_f64 v[33:34], v[26:27], v[30:31]
	v_add_f64 v[26:27], v[18:19], v[26:27]
	v_add_f64 v[24:25], v[24:25], -v[28:29]
	s_mov_b32 s1, 0xbfebb67a
	s_mov_b32 s0, 0xe8584caa
	v_fma_f64 v[18:19], v[33:34], -0.5, v[18:19]
	v_add_f64 v[26:27], v[26:27], v[30:31]
	v_fma_f64 v[28:29], v[24:25], s[0:1], v[18:19]
	s_mov_b32 s1, 0x3febb67a
	v_fma_f64 v[18:19], v[24:25], s[0:1], v[18:19]
	s_movk_i32 s0, 0x108
	v_mov_b32_e32 v25, 3
	v_mad_u32_u24 v24, v74, s0, 0
	v_lshlrev_b32_sdwa v25, v25, v73 dst_sel:DWORD dst_unused:UNUSED_PAD src0_sel:DWORD src1_sel:BYTE_0
	v_add3_u32 v24, v24, v25, v80
	ds_write2_b64 v24, v[26:27], v[28:29] offset1:11
	ds_write_b64 v24, v[18:19] offset:176
.LBB0_20:
	s_or_b64 exec, exec, s[6:7]
	s_waitcnt lgkmcnt(0)
	s_barrier
	s_and_saveexec_b64 s[0:1], vcc
	s_cbranch_execz .LBB0_22
; %bb.21:
	v_mul_u32_u24_e32 v18, 10, v72
	v_lshlrev_b32_e32 v18, 4, v18
	global_load_dwordx4 v[24:27], v18, s[12:13] offset:416
	global_load_dwordx4 v[28:31], v18, s[12:13] offset:432
	;; [unrolled: 1-line block ×10, first 2 shown]
	ds_read2_b64 v[33:36], v76 offset0:132 offset1:165
	ds_read2_b64 v[92:95], v76 offset0:198 offset1:231
	ds_read_b64 v[58:59], v32
	v_add_u32_e32 v32, 0x800, v76
	ds_read_b64 v[18:19], v77
	ds_read_b64 v[74:75], v79
	;; [unrolled: 1-line block ×3, first 2 shown]
	ds_read_b64 v[98:99], v76 offset:2640
	ds_read2_b64 v[76:79], v32 offset0:8 offset1:41
	s_mov_b32 s14, 0x9bcd5057
	s_mov_b32 s30, 0xfd768dbf
	;; [unrolled: 1-line block ×30, first 2 shown]
	s_waitcnt vmcnt(9)
	v_mul_f64 v[42:43], v[6:7], v[26:27]
	s_waitcnt vmcnt(8)
	v_mul_f64 v[50:51], v[8:9], v[30:31]
	;; [unrolled: 2-line block ×5, first 2 shown]
	s_waitcnt lgkmcnt(5)
	v_mul_f64 v[56:57], v[58:59], v[56:57]
	v_mul_f64 v[26:27], v[35:36], v[26:27]
	;; [unrolled: 1-line block ×3, first 2 shown]
	s_waitcnt vmcnt(1)
	v_mul_f64 v[111:112], v[14:15], v[86:87]
	s_waitcnt vmcnt(0)
	v_mul_f64 v[113:114], v[22:23], v[90:91]
	v_mul_f64 v[100:101], v[33:34], v[40:41]
	;; [unrolled: 1-line block ×6, first 2 shown]
	s_waitcnt lgkmcnt(0)
	v_mul_f64 v[82:83], v[78:79], v[82:83]
	v_mul_f64 v[86:87], v[96:97], v[86:87]
	;; [unrolled: 1-line block ×3, first 2 shown]
	v_fma_f64 v[44:45], v[35:36], v[24:25], v[42:43]
	v_fma_f64 v[52:53], v[33:34], v[38:39], v[52:53]
	;; [unrolled: 1-line block ×4, first 2 shown]
	v_fma_f64 v[58:59], v[20:21], v[54:55], -v[56:57]
	v_fma_f64 v[94:95], v[96:97], v[84:85], v[111:112]
	v_fma_f64 v[20:21], v[98:99], v[88:89], v[113:114]
	v_mul_f64 v[68:69], v[76:77], v[68:69]
	v_mul_f64 v[72:73], v[74:75], v[72:73]
	v_fma_f64 v[42:43], v[6:7], v[24:25], -v[26:27]
	v_fma_f64 v[36:37], v[8:9], v[28:29], -v[30:31]
	v_fma_f64 v[30:31], v[76:77], v[66:67], v[105:106]
	v_fma_f64 v[76:77], v[74:75], v[70:71], v[107:108]
	;; [unrolled: 1-line block ×3, first 2 shown]
	v_fma_f64 v[24:25], v[2:3], v[80:81], -v[82:83]
	v_fma_f64 v[90:91], v[14:15], v[84:85], -v[86:87]
	;; [unrolled: 1-line block ×3, first 2 shown]
	v_add_f64 v[102:103], v[94:95], v[20:21]
	v_add_f64 v[82:83], v[94:95], -v[20:21]
	v_fma_f64 v[40:41], v[92:93], v[28:29], v[50:51]
	v_fma_f64 v[50:51], v[4:5], v[38:39], -v[100:101]
	v_fma_f64 v[28:29], v[0:1], v[66:67], -v[68:69]
	;; [unrolled: 1-line block ×3, first 2 shown]
	v_add_f64 v[100:101], v[76:77], v[26:27]
	v_add_f64 v[68:69], v[90:91], -v[22:23]
	v_add_f64 v[80:81], v[76:77], -v[26:27]
	v_add_f64 v[70:71], v[90:91], v[22:23]
	v_mul_f64 v[0:1], v[102:103], s[14:15]
	v_mul_f64 v[2:3], v[82:83], s[28:29]
	v_fma_f64 v[32:33], v[10:11], v[46:47], -v[48:49]
	v_add_f64 v[98:99], v[64:65], v[30:31]
	v_add_f64 v[66:67], v[72:73], -v[24:25]
	v_add_f64 v[84:85], v[64:65], -v[30:31]
	v_add_f64 v[74:75], v[72:73], v[24:25]
	v_mul_f64 v[4:5], v[100:101], s[16:17]
	v_mul_f64 v[6:7], v[80:81], s[34:35]
	v_fma_f64 v[8:9], v[68:69], s[30:31], v[0:1]
	v_fma_f64 v[10:11], v[70:71], s[14:15], v[2:3]
	v_add_f64 v[96:97], v[52:53], v[34:35]
	v_add_f64 v[54:55], v[58:59], -v[28:29]
	v_add_f64 v[92:93], v[52:53], -v[34:35]
	v_add_f64 v[78:79], v[58:59], v[28:29]
	v_mul_f64 v[12:13], v[98:99], s[0:1]
	v_mul_f64 v[14:15], v[84:85], s[26:27]
	v_fma_f64 v[107:108], v[66:67], s[20:21], v[4:5]
	v_fma_f64 v[109:110], v[74:75], s[16:17], v[6:7]
	v_add_f64 v[8:9], v[18:19], v[8:9]
	v_add_f64 v[10:11], v[16:17], v[10:11]
	;; [unrolled: 1-line block ×3, first 2 shown]
	v_add_f64 v[48:49], v[50:51], -v[32:33]
	v_add_f64 v[88:89], v[44:45], -v[40:41]
	v_add_f64 v[56:57], v[50:51], v[32:33]
	v_mul_f64 v[111:112], v[96:97], s[8:9]
	v_fma_f64 v[0:1], v[68:69], s[28:29], v[0:1]
	v_mul_f64 v[113:114], v[92:93], s[36:37]
	v_fma_f64 v[115:116], v[54:55], s[18:19], v[12:13]
	v_fma_f64 v[2:3], v[70:71], s[14:15], -v[2:3]
	v_fma_f64 v[117:118], v[78:79], s[0:1], v[14:15]
	v_add_f64 v[8:9], v[107:108], v[8:9]
	v_add_f64 v[10:11], v[109:110], v[10:11]
	v_add_f64 v[38:39], v[42:43], -v[36:37]
	v_add_f64 v[46:47], v[42:43], v[36:37]
	v_mul_f64 v[105:106], v[86:87], s[6:7]
	v_fma_f64 v[4:5], v[66:67], s[34:35], v[4:5]
	v_add_f64 v[0:1], v[18:19], v[0:1]
	v_mul_f64 v[107:108], v[88:89], s[24:25]
	v_fma_f64 v[6:7], v[74:75], s[16:17], -v[6:7]
	v_add_f64 v[2:3], v[16:17], v[2:3]
	v_fma_f64 v[109:110], v[48:49], s[12:13], v[111:112]
	v_add_f64 v[8:9], v[115:116], v[8:9]
	v_add_f64 v[10:11], v[117:118], v[10:11]
	v_fma_f64 v[115:116], v[56:57], s[8:9], v[113:114]
	v_add_f64 v[0:1], v[4:5], v[0:1]
	v_mul_f64 v[4:5], v[102:103], s[0:1]
	v_fma_f64 v[12:13], v[54:55], s[26:27], v[12:13]
	v_add_f64 v[2:3], v[6:7], v[2:3]
	v_fma_f64 v[6:7], v[38:39], s[22:23], v[105:106]
	v_fma_f64 v[14:15], v[78:79], s[0:1], -v[14:15]
	v_add_f64 v[8:9], v[109:110], v[8:9]
	v_fma_f64 v[109:110], v[46:47], s[6:7], v[107:108]
	v_add_f64 v[10:11], v[115:116], v[10:11]
	v_mul_f64 v[117:118], v[82:83], s[26:27]
	v_mul_f64 v[115:116], v[100:101], s[6:7]
	v_fma_f64 v[111:112], v[48:49], s[36:37], v[111:112]
	v_add_f64 v[12:13], v[12:13], v[0:1]
	v_fma_f64 v[113:114], v[56:57], s[8:9], -v[113:114]
	v_add_f64 v[14:15], v[14:15], v[2:3]
	v_fma_f64 v[119:120], v[68:69], s[18:19], v[4:5]
	v_add_f64 v[2:3], v[6:7], v[8:9]
	v_add_f64 v[0:1], v[109:110], v[10:11]
	v_mul_f64 v[8:9], v[80:81], s[22:23]
	v_fma_f64 v[10:11], v[70:71], s[0:1], v[117:118]
	v_fma_f64 v[6:7], v[38:39], s[24:25], v[105:106]
	v_add_f64 v[12:13], v[111:112], v[12:13]
	v_fma_f64 v[105:106], v[46:47], s[6:7], -v[107:108]
	v_add_f64 v[14:15], v[113:114], v[14:15]
	v_mul_f64 v[107:108], v[98:99], s[16:17]
	v_fma_f64 v[109:110], v[66:67], s[24:25], v[115:116]
	v_add_f64 v[111:112], v[18:19], v[119:120]
	v_fma_f64 v[113:114], v[74:75], s[6:7], v[8:9]
	v_add_f64 v[10:11], v[16:17], v[10:11]
	v_mul_f64 v[119:120], v[84:85], s[20:21]
	v_fma_f64 v[4:5], v[68:69], s[26:27], v[4:5]
	v_add_f64 v[6:7], v[6:7], v[12:13]
	v_mul_f64 v[12:13], v[96:97], s[14:15]
	v_fma_f64 v[121:122], v[54:55], s[34:35], v[107:108]
	v_add_f64 v[109:110], v[109:110], v[111:112]
	v_fma_f64 v[111:112], v[70:71], s[0:1], -v[117:118]
	v_add_f64 v[10:11], v[113:114], v[10:11]
	v_fma_f64 v[113:114], v[78:79], s[16:17], v[119:120]
	v_mul_f64 v[117:118], v[92:93], s[28:29]
	v_fma_f64 v[115:116], v[66:67], s[22:23], v[115:116]
	v_add_f64 v[123:124], v[18:19], v[4:5]
	v_add_f64 v[4:5], v[105:106], v[14:15]
	v_fma_f64 v[8:9], v[74:75], s[6:7], -v[8:9]
	v_add_f64 v[14:15], v[16:17], v[111:112]
	v_add_f64 v[105:106], v[121:122], v[109:110]
	v_fma_f64 v[109:110], v[48:49], s[30:31], v[12:13]
	v_add_f64 v[10:11], v[113:114], v[10:11]
	v_fma_f64 v[111:112], v[56:57], s[14:15], v[117:118]
	v_add_f64 v[113:114], v[115:116], v[123:124]
	v_mul_f64 v[115:116], v[86:87], s[8:9]
	v_fma_f64 v[107:108], v[54:55], s[20:21], v[107:108]
	v_mul_f64 v[121:122], v[102:103], s[6:7]
	v_add_f64 v[8:9], v[8:9], v[14:15]
	v_fma_f64 v[14:15], v[78:79], s[16:17], -v[119:120]
	v_add_f64 v[105:106], v[109:110], v[105:106]
	v_mul_f64 v[109:110], v[88:89], s[36:37]
	v_add_f64 v[111:112], v[111:112], v[10:11]
	v_fma_f64 v[10:11], v[38:39], s[12:13], v[115:116]
	v_add_f64 v[107:108], v[107:108], v[113:114]
	v_mul_f64 v[113:114], v[100:101], s[14:15]
	v_fma_f64 v[119:120], v[68:69], s[22:23], v[121:122]
	v_mul_f64 v[123:124], v[82:83], s[24:25]
	v_add_f64 v[14:15], v[14:15], v[8:9]
	v_fma_f64 v[8:9], v[46:47], s[8:9], v[109:110]
	v_fma_f64 v[12:13], v[48:49], s[28:29], v[12:13]
	v_add_f64 v[10:11], v[10:11], v[105:106]
	v_mul_f64 v[105:106], v[98:99], s[8:9]
	v_fma_f64 v[125:126], v[66:67], s[28:29], v[113:114]
	v_add_f64 v[119:120], v[18:19], v[119:120]
	v_fma_f64 v[127:128], v[70:71], s[6:7], v[123:124]
	v_mul_f64 v[129:130], v[80:81], s[30:31]
	v_fma_f64 v[117:118], v[56:57], s[14:15], -v[117:118]
	v_add_f64 v[8:9], v[8:9], v[111:112]
	v_fma_f64 v[111:112], v[38:39], s[36:37], v[115:116]
	v_add_f64 v[12:13], v[12:13], v[107:108]
	v_fma_f64 v[107:108], v[54:55], s[12:13], v[105:106]
	v_add_f64 v[115:116], v[125:126], v[119:120]
	v_add_f64 v[125:126], v[16:17], v[127:128]
	v_fma_f64 v[127:128], v[74:75], s[14:15], v[129:130]
	v_mul_f64 v[131:132], v[84:85], s[36:37]
	v_fma_f64 v[109:110], v[46:47], s[8:9], -v[109:110]
	v_add_f64 v[117:118], v[117:118], v[14:15]
	v_add_f64 v[14:15], v[111:112], v[12:13]
	v_fma_f64 v[12:13], v[68:69], s[24:25], v[121:122]
	v_add_f64 v[107:108], v[107:108], v[115:116]
	v_fma_f64 v[121:122], v[70:71], s[6:7], -v[123:124]
	v_add_f64 v[115:116], v[127:128], v[125:126]
	v_fma_f64 v[123:124], v[78:79], s[8:9], v[131:132]
	v_mul_f64 v[119:120], v[96:97], s[16:17]
	v_mul_f64 v[125:126], v[92:93], s[20:21]
	v_fma_f64 v[113:114], v[66:67], s[30:31], v[113:114]
	v_add_f64 v[133:134], v[18:19], v[12:13]
	v_add_f64 v[12:13], v[109:110], v[117:118]
	v_fma_f64 v[109:110], v[74:75], s[14:15], -v[129:130]
	v_add_f64 v[117:118], v[16:17], v[121:122]
	v_add_f64 v[115:116], v[123:124], v[115:116]
	v_mul_f64 v[123:124], v[102:103], s[8:9]
	v_fma_f64 v[111:112], v[48:49], s[34:35], v[119:120]
	v_mul_f64 v[127:128], v[86:87], s[0:1]
	v_fma_f64 v[121:122], v[56:57], s[16:17], v[125:126]
	v_add_f64 v[113:114], v[113:114], v[133:134]
	v_fma_f64 v[105:106], v[54:55], s[36:37], v[105:106]
	v_add_f64 v[109:110], v[109:110], v[117:118]
	v_fma_f64 v[117:118], v[78:79], s[8:9], -v[131:132]
	v_fma_f64 v[129:130], v[68:69], s[36:37], v[123:124]
	v_mul_f64 v[131:132], v[100:101], s[0:1]
	v_add_f64 v[107:108], v[111:112], v[107:108]
	v_fma_f64 v[111:112], v[38:39], s[18:19], v[127:128]
	v_add_f64 v[115:116], v[121:122], v[115:116]
	v_mul_f64 v[121:122], v[82:83], s[12:13]
	v_add_f64 v[105:106], v[105:106], v[113:114]
	v_add_f64 v[109:110], v[117:118], v[109:110]
	v_fma_f64 v[113:114], v[48:49], s[20:21], v[119:120]
	v_fma_f64 v[125:126], v[56:57], s[16:17], -v[125:126]
	v_add_f64 v[129:130], v[18:19], v[129:130]
	v_fma_f64 v[133:134], v[66:67], s[18:19], v[131:132]
	v_mul_f64 v[135:136], v[98:99], s[14:15]
	v_add_f64 v[107:108], v[111:112], v[107:108]
	v_mul_f64 v[111:112], v[88:89], s[26:27]
	v_fma_f64 v[117:118], v[70:71], s[8:9], v[121:122]
	v_mul_f64 v[119:120], v[80:81], s[26:27]
	v_add_f64 v[113:114], v[113:114], v[105:106]
	v_add_f64 v[109:110], v[125:126], v[109:110]
	;; [unrolled: 1-line block ×3, first 2 shown]
	v_fma_f64 v[129:130], v[54:55], s[28:29], v[135:136]
	v_mul_f64 v[133:134], v[96:97], s[6:7]
	v_fma_f64 v[127:128], v[38:39], s[26:27], v[127:128]
	v_fma_f64 v[137:138], v[46:47], s[0:1], v[111:112]
	v_add_f64 v[105:106], v[16:17], v[117:118]
	v_fma_f64 v[117:118], v[74:75], s[0:1], v[119:120]
	v_mul_f64 v[139:140], v[84:85], s[30:31]
	v_fma_f64 v[141:142], v[46:47], s[0:1], -v[111:112]
	v_add_f64 v[125:126], v[129:130], v[125:126]
	v_fma_f64 v[129:130], v[48:49], s[24:25], v[133:134]
	v_add_f64 v[111:112], v[127:128], v[113:114]
	v_fma_f64 v[113:114], v[68:69], s[12:13], v[123:124]
	v_fma_f64 v[121:122], v[70:71], s[8:9], -v[121:122]
	v_add_f64 v[117:118], v[117:118], v[105:106]
	v_fma_f64 v[143:144], v[78:79], s[14:15], v[139:140]
	v_add_f64 v[105:106], v[137:138], v[115:116]
	v_mul_f64 v[115:116], v[92:93], s[22:23]
	v_mul_f64 v[127:128], v[102:103], s[16:17]
	v_add_f64 v[102:103], v[129:130], v[125:126]
	v_mul_f64 v[125:126], v[86:87], s[16:17]
	v_fma_f64 v[129:130], v[66:67], s[26:27], v[131:132]
	v_add_f64 v[113:114], v[18:19], v[113:114]
	v_fma_f64 v[119:120], v[74:75], s[0:1], -v[119:120]
	v_add_f64 v[121:122], v[16:17], v[121:122]
	v_add_f64 v[117:118], v[143:144], v[117:118]
	v_fma_f64 v[123:124], v[56:57], s[6:7], v[115:116]
	v_mul_f64 v[131:132], v[100:101], s[8:9]
	v_fma_f64 v[100:101], v[38:39], s[20:21], v[125:126]
	v_mul_f64 v[137:138], v[88:89], s[34:35]
	v_add_f64 v[113:114], v[129:130], v[113:114]
	v_fma_f64 v[129:130], v[54:55], s[30:31], v[135:136]
	v_add_f64 v[119:120], v[119:120], v[121:122]
	v_fma_f64 v[121:122], v[78:79], s[14:15], -v[139:140]
	v_add_f64 v[94:95], v[18:19], v[94:95]
	v_add_f64 v[90:91], v[16:17], v[90:91]
	;; [unrolled: 1-line block ×3, first 2 shown]
	v_mul_f64 v[139:140], v[98:99], s[6:7]
	v_add_f64 v[98:99], v[100:101], v[102:103]
	v_fma_f64 v[100:101], v[46:47], s[16:17], v[137:138]
	v_add_f64 v[102:103], v[129:130], v[113:114]
	v_fma_f64 v[113:114], v[48:49], s[22:23], v[133:134]
	v_add_f64 v[119:120], v[121:122], v[119:120]
	v_fma_f64 v[115:116], v[56:57], s[6:7], -v[115:116]
	v_add_f64 v[76:77], v[76:77], v[94:95]
	v_add_f64 v[72:73], v[72:73], v[90:91]
	v_mul_f64 v[129:130], v[96:97], s[0:1]
	v_add_f64 v[96:97], v[100:101], v[117:118]
	v_fma_f64 v[123:124], v[68:69], s[34:35], v[127:128]
	v_add_f64 v[100:101], v[113:114], v[102:103]
	v_fma_f64 v[68:69], v[68:69], s[20:21], v[127:128]
	v_add_f64 v[113:114], v[115:116], v[119:120]
	v_mul_lo_u32 v120, s4, v63
	v_add_f64 v[63:64], v[64:65], v[76:77]
	v_add_f64 v[72:73], v[58:59], v[72:73]
	v_mul_f64 v[82:83], v[82:83], s[20:21]
	v_add_f64 v[123:124], v[18:19], v[123:124]
	v_mul_lo_u32 v119, s5, v62
	v_add_f64 v[18:19], v[18:19], v[68:69]
	v_mad_u64_u32 v[76:77], s[4:5], s4, v62, 0
	v_add_f64 v[52:53], v[52:53], v[63:64]
	v_add_f64 v[50:51], v[50:51], v[72:73]
	v_mul_f64 v[62:63], v[80:81], s[12:13]
	v_fma_f64 v[64:65], v[70:71], s[16:17], v[82:83]
	v_fma_f64 v[70:71], v[70:71], s[16:17], -v[82:83]
	v_mul_f64 v[80:81], v[84:85], s[24:25]
	v_mul_f64 v[86:87], v[86:87], s[14:15]
	;; [unrolled: 1-line block ×3, first 2 shown]
	v_add_f64 v[44:45], v[44:45], v[52:53]
	v_add_f64 v[42:43], v[42:43], v[50:51]
	v_fma_f64 v[50:51], v[66:67], s[12:13], v[131:132]
	v_fma_f64 v[52:53], v[74:75], s[8:9], v[62:63]
	v_add_f64 v[64:65], v[16:17], v[64:65]
	v_fma_f64 v[62:63], v[74:75], s[8:9], -v[62:63]
	v_add_f64 v[16:17], v[16:17], v[70:71]
	v_mul_f64 v[88:89], v[88:89], s[28:29]
	v_add_f64 v[40:41], v[40:41], v[44:45]
	v_add_f64 v[36:37], v[36:37], v[42:43]
	v_fma_f64 v[42:43], v[54:55], s[24:25], v[139:140]
	v_add_f64 v[18:19], v[50:51], v[18:19]
	v_fma_f64 v[50:51], v[78:79], s[6:7], -v[80:81]
	v_add3_u32 v77, v77, v120, v119
	v_add_f64 v[16:17], v[62:63], v[16:17]
	v_fma_f64 v[102:103], v[38:39], s[34:35], v[125:126]
	v_add_f64 v[34:35], v[34:35], v[40:41]
	v_add_f64 v[32:33], v[32:33], v[36:37]
	v_fma_f64 v[36:37], v[48:49], s[26:27], v[129:130]
	v_add_f64 v[18:19], v[42:43], v[18:19]
	v_fma_f64 v[42:43], v[56:57], s[0:1], -v[72:73]
	v_fma_f64 v[40:41], v[56:57], s[0:1], v[72:73]
	v_add_f64 v[16:17], v[50:51], v[16:17]
	v_fma_f64 v[94:95], v[46:47], s[16:17], -v[137:138]
	v_add_f64 v[30:31], v[30:31], v[34:35]
	v_add_f64 v[28:29], v[28:29], v[32:33]
	v_fma_f64 v[32:33], v[38:39], s[28:29], v[86:87]
	v_add_f64 v[18:19], v[36:37], v[18:19]
	v_fma_f64 v[36:37], v[46:47], s[14:15], -v[88:89]
	v_add_f64 v[102:103], v[102:103], v[100:101]
	v_add_f64 v[16:17], v[42:43], v[16:17]
	;; [unrolled: 1-line block ×4, first 2 shown]
	v_mad_u64_u32 v[30:31], s[0:1], s2, v104, 0
	v_add_f64 v[28:29], v[24:25], v[28:29]
	v_add_f64 v[18:19], v[32:33], v[18:19]
	v_mov_b32_e32 v24, v31
	v_mad_u64_u32 v[31:32], s[0:1], s3, v104, v[24:25]
	v_add_f64 v[24:25], v[20:21], v[26:27]
	v_lshlrev_b64 v[20:21], 4, v[76:77]
	v_mov_b32_e32 v26, s11
	v_add_co_u32_e32 v27, vcc, s10, v20
	v_addc_co_u32_e32 v26, vcc, v26, v21, vcc
	v_lshlrev_b64 v[20:21], 4, v[60:61]
	v_add_f64 v[22:23], v[22:23], v[28:29]
	v_add_co_u32_e32 v32, vcc, v27, v20
	v_add_u32_e32 v28, 33, v104
	v_addc_co_u32_e32 v33, vcc, v26, v21, vcc
	v_mad_u64_u32 v[26:27], s[0:1], s2, v28, 0
	v_add_f64 v[16:17], v[36:37], v[16:17]
	v_lshlrev_b64 v[20:21], 4, v[30:31]
	v_mad_u64_u32 v[27:28], s[0:1], s3, v28, v[27:28]
	v_add_co_u32_e32 v20, vcc, v32, v20
	v_addc_co_u32_e32 v21, vcc, v33, v21, vcc
	v_add_u32_e32 v30, 0x42, v104
	v_mad_u64_u32 v[28:29], s[0:1], s2, v30, 0
	global_store_dwordx4 v[20:21], v[22:25], off
	v_lshlrev_b64 v[20:21], 4, v[26:27]
	v_mov_b32_e32 v22, v29
	v_add_co_u32_e32 v20, vcc, v32, v20
	v_addc_co_u32_e32 v21, vcc, v33, v21, vcc
	global_store_dwordx4 v[20:21], v[16:19], off
	v_add_u32_e32 v20, 0x63, v104
	v_mad_u64_u32 v[22:23], s[0:1], s3, v30, v[22:23]
	v_mad_u64_u32 v[18:19], s[0:1], s2, v20, 0
	v_mov_b32_e32 v29, v22
	v_add_u32_e32 v22, 0x84, v104
	v_mad_u64_u32 v[19:20], s[0:1], s3, v20, v[19:20]
	v_lshlrev_b64 v[16:17], 4, v[28:29]
	v_mad_u64_u32 v[20:21], s[0:1], s2, v22, 0
	v_add_f64 v[109:110], v[141:142], v[109:110]
	v_add_co_u32_e32 v16, vcc, v32, v16
	v_addc_co_u32_e32 v17, vcc, v33, v17, vcc
	global_store_dwordx4 v[16:17], v[100:103], off
	v_lshlrev_b64 v[16:17], 4, v[18:19]
	v_mov_b32_e32 v18, v21
	v_mad_u64_u32 v[18:19], s[0:1], s3, v22, v[18:19]
	v_add_co_u32_e32 v16, vcc, v32, v16
	v_addc_co_u32_e32 v17, vcc, v33, v17, vcc
	v_mov_b32_e32 v21, v18
	global_store_dwordx4 v[16:17], v[109:112], off
	v_lshlrev_b64 v[16:17], 4, v[20:21]
	v_add_u32_e32 v20, 0xa5, v104
	v_mad_u64_u32 v[18:19], s[0:1], s2, v20, 0
	v_fma_f64 v[135:136], v[66:67], s[36:37], v[131:132]
	v_add_co_u32_e32 v16, vcc, v32, v16
	v_mad_u64_u32 v[19:20], s[0:1], s3, v20, v[19:20]
	v_addc_co_u32_e32 v17, vcc, v33, v17, vcc
	v_add_u32_e32 v22, 0xc6, v104
	v_mad_u64_u32 v[20:21], s[0:1], s2, v22, 0
	global_store_dwordx4 v[16:17], v[12:15], off
	v_add_f64 v[121:122], v[135:136], v[123:124]
	v_lshlrev_b64 v[12:13], 4, v[18:19]
	v_mov_b32_e32 v14, v21
	v_add_co_u32_e32 v12, vcc, v32, v12
	v_addc_co_u32_e32 v13, vcc, v33, v13, vcc
	global_store_dwordx4 v[12:13], v[4:7], off
	v_add_u32_e32 v12, 0xe7, v104
	v_mad_u64_u32 v[14:15], s[0:1], s3, v22, v[14:15]
	v_mad_u64_u32 v[6:7], s[0:1], s2, v12, 0
	v_fma_f64 v[123:124], v[54:55], s[22:23], v[139:140]
	v_fma_f64 v[44:45], v[78:79], s[6:7], v[80:81]
	v_add_f64 v[52:53], v[52:53], v[64:65]
	v_mov_b32_e32 v21, v14
	v_mad_u64_u32 v[12:13], s[0:1], s3, v12, v[7:8]
	v_add_u32_e32 v15, 0x108, v104
	v_lshlrev_b64 v[4:5], 4, v[20:21]
	v_mad_u64_u32 v[13:14], s[0:1], s2, v15, 0
	v_add_co_u32_e32 v4, vcc, v32, v4
	v_addc_co_u32_e32 v5, vcc, v33, v5, vcc
	v_add_f64 v[115:116], v[123:124], v[121:122]
	v_fma_f64 v[117:118], v[48:49], s[18:19], v[129:130]
	v_add_f64 v[44:45], v[44:45], v[52:53]
	global_store_dwordx4 v[4:5], v[0:3], off
	v_add_u32_e32 v4, 0x129, v104
	v_mov_b32_e32 v2, v14
	v_mad_u64_u32 v[2:3], s[0:1], s3, v15, v[2:3]
	v_mov_b32_e32 v7, v12
	v_lshlrev_b64 v[0:1], 4, v[6:7]
	v_mov_b32_e32 v14, v2
	v_mad_u64_u32 v[2:3], s[0:1], s2, v4, 0
	v_add_f64 v[90:91], v[117:118], v[115:116]
	v_fma_f64 v[115:116], v[38:39], s[30:31], v[86:87]
	v_fma_f64 v[34:35], v[46:47], s[14:15], v[88:89]
	v_add_f64 v[40:41], v[40:41], v[44:45]
	v_add_co_u32_e32 v0, vcc, v32, v0
	v_addc_co_u32_e32 v1, vcc, v33, v1, vcc
	v_mad_u64_u32 v[3:4], s[0:1], s3, v4, v[3:4]
	v_add_u32_e32 v6, 0x14a, v104
	global_store_dwordx4 v[0:1], v[8:11], off
	v_lshlrev_b64 v[0:1], 4, v[13:14]
	v_mad_u64_u32 v[4:5], s[0:1], s2, v6, 0
	v_add_co_u32_e32 v0, vcc, v32, v0
	v_addc_co_u32_e32 v1, vcc, v33, v1, vcc
	global_store_dwordx4 v[0:1], v[105:108], off
	v_lshlrev_b64 v[0:1], 4, v[2:3]
	v_mov_b32_e32 v2, v5
	v_mad_u64_u32 v[2:3], s[0:1], s3, v6, v[2:3]
	v_add_f64 v[58:59], v[115:116], v[90:91]
	v_add_f64 v[56:57], v[34:35], v[40:41]
	v_add_co_u32_e32 v0, vcc, v32, v0
	v_addc_co_u32_e32 v1, vcc, v33, v1, vcc
	v_mov_b32_e32 v5, v2
	global_store_dwordx4 v[0:1], v[96:99], off
	v_lshlrev_b64 v[0:1], 4, v[4:5]
	v_add_co_u32_e32 v0, vcc, v32, v0
	v_addc_co_u32_e32 v1, vcc, v33, v1, vcc
	global_store_dwordx4 v[0:1], v[56:59], off
.LBB0_22:
	s_endpgm
	.section	.rodata,"a",@progbits
	.p2align	6, 0x0
	.amdhsa_kernel fft_rtc_fwd_len363_factors_11_3_11_wgs_99_tpt_33_halfLds_dp_op_CI_CI_sbrr_dirReg
		.amdhsa_group_segment_fixed_size 0
		.amdhsa_private_segment_fixed_size 0
		.amdhsa_kernarg_size 104
		.amdhsa_user_sgpr_count 6
		.amdhsa_user_sgpr_private_segment_buffer 1
		.amdhsa_user_sgpr_dispatch_ptr 0
		.amdhsa_user_sgpr_queue_ptr 0
		.amdhsa_user_sgpr_kernarg_segment_ptr 1
		.amdhsa_user_sgpr_dispatch_id 0
		.amdhsa_user_sgpr_flat_scratch_init 0
		.amdhsa_user_sgpr_private_segment_size 0
		.amdhsa_uses_dynamic_stack 0
		.amdhsa_system_sgpr_private_segment_wavefront_offset 0
		.amdhsa_system_sgpr_workgroup_id_x 1
		.amdhsa_system_sgpr_workgroup_id_y 0
		.amdhsa_system_sgpr_workgroup_id_z 0
		.amdhsa_system_sgpr_workgroup_info 0
		.amdhsa_system_vgpr_workitem_id 0
		.amdhsa_next_free_vgpr 145
		.amdhsa_next_free_sgpr 42
		.amdhsa_reserve_vcc 1
		.amdhsa_reserve_flat_scratch 0
		.amdhsa_float_round_mode_32 0
		.amdhsa_float_round_mode_16_64 0
		.amdhsa_float_denorm_mode_32 3
		.amdhsa_float_denorm_mode_16_64 3
		.amdhsa_dx10_clamp 1
		.amdhsa_ieee_mode 1
		.amdhsa_fp16_overflow 0
		.amdhsa_exception_fp_ieee_invalid_op 0
		.amdhsa_exception_fp_denorm_src 0
		.amdhsa_exception_fp_ieee_div_zero 0
		.amdhsa_exception_fp_ieee_overflow 0
		.amdhsa_exception_fp_ieee_underflow 0
		.amdhsa_exception_fp_ieee_inexact 0
		.amdhsa_exception_int_div_zero 0
	.end_amdhsa_kernel
	.text
.Lfunc_end0:
	.size	fft_rtc_fwd_len363_factors_11_3_11_wgs_99_tpt_33_halfLds_dp_op_CI_CI_sbrr_dirReg, .Lfunc_end0-fft_rtc_fwd_len363_factors_11_3_11_wgs_99_tpt_33_halfLds_dp_op_CI_CI_sbrr_dirReg
                                        ; -- End function
	.section	.AMDGPU.csdata,"",@progbits
; Kernel info:
; codeLenInByte = 10160
; NumSgprs: 46
; NumVgprs: 145
; ScratchSize: 0
; MemoryBound: 1
; FloatMode: 240
; IeeeMode: 1
; LDSByteSize: 0 bytes/workgroup (compile time only)
; SGPRBlocks: 5
; VGPRBlocks: 36
; NumSGPRsForWavesPerEU: 46
; NumVGPRsForWavesPerEU: 145
; Occupancy: 1
; WaveLimiterHint : 1
; COMPUTE_PGM_RSRC2:SCRATCH_EN: 0
; COMPUTE_PGM_RSRC2:USER_SGPR: 6
; COMPUTE_PGM_RSRC2:TRAP_HANDLER: 0
; COMPUTE_PGM_RSRC2:TGID_X_EN: 1
; COMPUTE_PGM_RSRC2:TGID_Y_EN: 0
; COMPUTE_PGM_RSRC2:TGID_Z_EN: 0
; COMPUTE_PGM_RSRC2:TIDIG_COMP_CNT: 0
	.type	__hip_cuid_a063ca0b736fdc0c,@object ; @__hip_cuid_a063ca0b736fdc0c
	.section	.bss,"aw",@nobits
	.globl	__hip_cuid_a063ca0b736fdc0c
__hip_cuid_a063ca0b736fdc0c:
	.byte	0                               ; 0x0
	.size	__hip_cuid_a063ca0b736fdc0c, 1

	.ident	"AMD clang version 19.0.0git (https://github.com/RadeonOpenCompute/llvm-project roc-6.4.0 25133 c7fe45cf4b819c5991fe208aaa96edf142730f1d)"
	.section	".note.GNU-stack","",@progbits
	.addrsig
	.addrsig_sym __hip_cuid_a063ca0b736fdc0c
	.amdgpu_metadata
---
amdhsa.kernels:
  - .args:
      - .actual_access:  read_only
        .address_space:  global
        .offset:         0
        .size:           8
        .value_kind:     global_buffer
      - .offset:         8
        .size:           8
        .value_kind:     by_value
      - .actual_access:  read_only
        .address_space:  global
        .offset:         16
        .size:           8
        .value_kind:     global_buffer
      - .actual_access:  read_only
        .address_space:  global
        .offset:         24
        .size:           8
        .value_kind:     global_buffer
      - .actual_access:  read_only
        .address_space:  global
        .offset:         32
        .size:           8
        .value_kind:     global_buffer
      - .offset:         40
        .size:           8
        .value_kind:     by_value
      - .actual_access:  read_only
        .address_space:  global
        .offset:         48
        .size:           8
        .value_kind:     global_buffer
      - .actual_access:  read_only
        .address_space:  global
        .offset:         56
        .size:           8
        .value_kind:     global_buffer
      - .offset:         64
        .size:           4
        .value_kind:     by_value
      - .actual_access:  read_only
        .address_space:  global
        .offset:         72
        .size:           8
        .value_kind:     global_buffer
      - .actual_access:  read_only
        .address_space:  global
        .offset:         80
        .size:           8
        .value_kind:     global_buffer
      - .actual_access:  read_only
        .address_space:  global
        .offset:         88
        .size:           8
        .value_kind:     global_buffer
      - .actual_access:  write_only
        .address_space:  global
        .offset:         96
        .size:           8
        .value_kind:     global_buffer
    .group_segment_fixed_size: 0
    .kernarg_segment_align: 8
    .kernarg_segment_size: 104
    .language:       OpenCL C
    .language_version:
      - 2
      - 0
    .max_flat_workgroup_size: 99
    .name:           fft_rtc_fwd_len363_factors_11_3_11_wgs_99_tpt_33_halfLds_dp_op_CI_CI_sbrr_dirReg
    .private_segment_fixed_size: 0
    .sgpr_count:     46
    .sgpr_spill_count: 0
    .symbol:         fft_rtc_fwd_len363_factors_11_3_11_wgs_99_tpt_33_halfLds_dp_op_CI_CI_sbrr_dirReg.kd
    .uniform_work_group_size: 1
    .uses_dynamic_stack: false
    .vgpr_count:     145
    .vgpr_spill_count: 0
    .wavefront_size: 64
amdhsa.target:   amdgcn-amd-amdhsa--gfx906
amdhsa.version:
  - 1
  - 2
...

	.end_amdgpu_metadata
